;; amdgpu-corpus repo=ROCm/hip-tests kind=compiled arch=gfx90a opt=O3
	.text
	.amdgcn_target "amdgcn-amd-amdhsa--gfx90a"
	.amdhsa_code_object_version 6
	.protected	_Z18funnelshift_kernelPjS_S_S_ ; -- Begin function _Z18funnelshift_kernelPjS_S_S_
	.globl	_Z18funnelshift_kernelPjS_S_S_
	.p2align	8
	.type	_Z18funnelshift_kernelPjS_S_S_,@function
_Z18funnelshift_kernelPjS_S_S_:         ; @_Z18funnelshift_kernelPjS_S_S_
; %bb.0:
	s_load_dwordx8 s[0:7], s[4:5], 0x0
	v_mov_b32_e32 v0, 0
	v_mov_b32_e32 v1, 0xfacefeed
	;; [unrolled: 1-line block ×3, first 2 shown]
	s_mov_b32 s18, -2
	s_mov_b32 s19, 2
	s_mov_b64 s[8:9], 0
	s_mov_b32 s20, 0xfacefeed
	s_waitcnt lgkmcnt(0)
	global_store_dword v0, v1, s[0:1]
	global_store_dword v0, v1, s[2:3]
	;; [unrolled: 1-line block ×4, first 2 shown]
	s_branch .LBB0_3
.LBB0_1:                                ;   in Loop: Header=BB0_3 Depth=1
	v_mov_b32_e32 v3, s18
	v_alignbit_b32 v3, s20, v2, v3
.LBB0_2:                                ;   in Loop: Header=BB0_3 Depth=1
	s_cmp_lt_u32 s21, 31
	global_store_dword v0, v3, s[10:11] offset:8
	v_mov_b32_e32 v3, s19
	v_sub_u32_e64 v4, 32, s19 clamp
	s_cselect_b64 vcc, -1, 0
	s_add_i32 s18, s18, -2
	s_add_i32 s19, s19, 2
	s_add_u32 s8, s8, 8
	v_alignbit_b32 v4, s20, v2, v4
	v_alignbit_b32 v3, s20, v2, v3
	s_addc_u32 s9, s9, 0
	global_store_dword v0, v4, s[12:13] offset:8
	global_store_dword v0, v3, s[16:17] offset:8
	v_cndmask_b32_e32 v3, v1, v3, vcc
	s_cmp_eq_u32 s21, 63
	global_store_dword v0, v3, s[14:15] offset:8
	s_cbranch_scc1 .LBB0_5
.LBB0_3:                                ; =>This Inner Loop Header: Depth=1
	s_add_i32 s21, s19, -1
	s_add_i32 s10, s18, 1
	v_mov_b32_e32 v3, s10
	s_add_u32 s10, s0, s8
	s_addc_u32 s11, s1, s9
	s_add_u32 s12, s2, s8
	s_addc_u32 s13, s3, s9
	;; [unrolled: 2-line block ×3, first 2 shown]
	v_alignbit_b32 v3, s20, v2, v3
	s_cmp_lt_u32 s21, 32
	global_store_dword v0, v3, s[10:11] offset:4
	v_mov_b32_e32 v3, s21
	v_sub_u32_e64 v4, 32, s21 clamp
	s_cselect_b64 vcc, -1, 0
	s_add_u32 s14, s6, s8
	v_alignbit_b32 v4, s20, v2, v4
	v_alignbit_b32 v3, s20, v2, v3
	s_addc_u32 s15, s7, s9
	s_and_b32 s22, s19, 31
	global_store_dword v0, v4, s[12:13] offset:4
	global_store_dword v0, v3, s[16:17] offset:4
	v_cndmask_b32_e32 v3, v1, v3, vcc
	s_cmp_eq_u32 s22, 0
	global_store_dword v0, v3, s[14:15] offset:4
	s_cbranch_scc0 .LBB0_1
; %bb.4:                                ;   in Loop: Header=BB0_3 Depth=1
	v_mov_b32_e32 v3, 0xfacefeed
	s_branch .LBB0_2
.LBB0_5:
	s_endpgm
	.section	.rodata,"a",@progbits
	.p2align	6, 0x0
	.amdhsa_kernel _Z18funnelshift_kernelPjS_S_S_
		.amdhsa_group_segment_fixed_size 0
		.amdhsa_private_segment_fixed_size 0
		.amdhsa_kernarg_size 32
		.amdhsa_user_sgpr_count 6
		.amdhsa_user_sgpr_private_segment_buffer 1
		.amdhsa_user_sgpr_dispatch_ptr 0
		.amdhsa_user_sgpr_queue_ptr 0
		.amdhsa_user_sgpr_kernarg_segment_ptr 1
		.amdhsa_user_sgpr_dispatch_id 0
		.amdhsa_user_sgpr_flat_scratch_init 0
		.amdhsa_user_sgpr_kernarg_preload_length 0
		.amdhsa_user_sgpr_kernarg_preload_offset 0
		.amdhsa_user_sgpr_private_segment_size 0
		.amdhsa_uses_dynamic_stack 0
		.amdhsa_system_sgpr_private_segment_wavefront_offset 0
		.amdhsa_system_sgpr_workgroup_id_x 1
		.amdhsa_system_sgpr_workgroup_id_y 0
		.amdhsa_system_sgpr_workgroup_id_z 0
		.amdhsa_system_sgpr_workgroup_info 0
		.amdhsa_system_vgpr_workitem_id 0
		.amdhsa_next_free_vgpr 5
		.amdhsa_next_free_sgpr 23
		.amdhsa_accum_offset 8
		.amdhsa_reserve_vcc 1
		.amdhsa_reserve_flat_scratch 0
		.amdhsa_float_round_mode_32 0
		.amdhsa_float_round_mode_16_64 0
		.amdhsa_float_denorm_mode_32 3
		.amdhsa_float_denorm_mode_16_64 3
		.amdhsa_dx10_clamp 1
		.amdhsa_ieee_mode 1
		.amdhsa_fp16_overflow 0
		.amdhsa_tg_split 0
		.amdhsa_exception_fp_ieee_invalid_op 0
		.amdhsa_exception_fp_denorm_src 0
		.amdhsa_exception_fp_ieee_div_zero 0
		.amdhsa_exception_fp_ieee_overflow 0
		.amdhsa_exception_fp_ieee_underflow 0
		.amdhsa_exception_fp_ieee_inexact 0
		.amdhsa_exception_int_div_zero 0
	.end_amdhsa_kernel
	.text
.Lfunc_end0:
	.size	_Z18funnelshift_kernelPjS_S_S_, .Lfunc_end0-_Z18funnelshift_kernelPjS_S_S_
                                        ; -- End function
	.section	.AMDGPU.csdata,"",@progbits
; Kernel info:
; codeLenInByte = 348
; NumSgprs: 27
; NumVgprs: 5
; NumAgprs: 0
; TotalNumVgprs: 5
; ScratchSize: 0
; MemoryBound: 0
; FloatMode: 240
; IeeeMode: 1
; LDSByteSize: 0 bytes/workgroup (compile time only)
; SGPRBlocks: 3
; VGPRBlocks: 0
; NumSGPRsForWavesPerEU: 27
; NumVGPRsForWavesPerEU: 5
; AccumOffset: 8
; Occupancy: 8
; WaveLimiterHint : 0
; COMPUTE_PGM_RSRC2:SCRATCH_EN: 0
; COMPUTE_PGM_RSRC2:USER_SGPR: 6
; COMPUTE_PGM_RSRC2:TRAP_HANDLER: 0
; COMPUTE_PGM_RSRC2:TGID_X_EN: 1
; COMPUTE_PGM_RSRC2:TGID_Y_EN: 0
; COMPUTE_PGM_RSRC2:TGID_Z_EN: 0
; COMPUTE_PGM_RSRC2:TIDIG_COMP_CNT: 0
; COMPUTE_PGM_RSRC3_GFX90A:ACCUM_OFFSET: 1
; COMPUTE_PGM_RSRC3_GFX90A:TG_SPLIT: 0
	.text
	.p2alignl 6, 3212836864
	.fill 256, 4, 3212836864
	.type	__hip_cuid_f6e1ad7881410a2a,@object ; @__hip_cuid_f6e1ad7881410a2a
	.section	.bss,"aw",@nobits
	.globl	__hip_cuid_f6e1ad7881410a2a
__hip_cuid_f6e1ad7881410a2a:
	.byte	0                               ; 0x0
	.size	__hip_cuid_f6e1ad7881410a2a, 1

	.ident	"AMD clang version 19.0.0git (https://github.com/RadeonOpenCompute/llvm-project roc-6.4.0 25133 c7fe45cf4b819c5991fe208aaa96edf142730f1d)"
	.section	".note.GNU-stack","",@progbits
	.addrsig
	.addrsig_sym __hip_cuid_f6e1ad7881410a2a
	.amdgpu_metadata
---
amdhsa.kernels:
  - .agpr_count:     0
    .args:
      - .address_space:  global
        .offset:         0
        .size:           8
        .value_kind:     global_buffer
      - .address_space:  global
        .offset:         8
        .size:           8
        .value_kind:     global_buffer
      - .address_space:  global
        .offset:         16
        .size:           8
        .value_kind:     global_buffer
      - .address_space:  global
        .offset:         24
        .size:           8
        .value_kind:     global_buffer
    .group_segment_fixed_size: 0
    .kernarg_segment_align: 8
    .kernarg_segment_size: 32
    .language:       OpenCL C
    .language_version:
      - 2
      - 0
    .max_flat_workgroup_size: 1024
    .name:           _Z18funnelshift_kernelPjS_S_S_
    .private_segment_fixed_size: 0
    .sgpr_count:     27
    .sgpr_spill_count: 0
    .symbol:         _Z18funnelshift_kernelPjS_S_S_.kd
    .uniform_work_group_size: 1
    .uses_dynamic_stack: false
    .vgpr_count:     5
    .vgpr_spill_count: 0
    .wavefront_size: 64
amdhsa.target:   amdgcn-amd-amdhsa--gfx90a
amdhsa.version:
  - 1
  - 2
...

	.end_amdgpu_metadata
